;; amdgpu-corpus repo=ROCm/hip-tests kind=compiled arch=gfx1100 opt=O3
	.text
	.amdgcn_target "amdgcn-amd-amdhsa--gfx1100"
	.amdhsa_code_object_version 6
	.protected	_Z8test_gwsPimPyS0_     ; -- Begin function _Z8test_gwsPimPyS0_
	.globl	_Z8test_gwsPimPyS0_
	.p2align	8
	.type	_Z8test_gwsPimPyS0_,@function
_Z8test_gwsPimPyS0_:                    ; @_Z8test_gwsPimPyS0_
; %bb.0:
	s_clause 0x1
	s_load_b64 s[8:9], s[0:1], 0x20
	s_load_b64 s[16:17], s[0:1], 0x2c
	s_add_u32 s10, s0, 32
	s_addc_u32 s11, s1, 0
	v_bfe_u32 v2, v0, 20, 10
	s_mov_b32 s12, s13
	v_mov_b32_e32 v1, 0
	s_waitcnt lgkmcnt(0)
	s_mul_i32 s2, s9, s15
	s_lshr_b32 s13, s16, 16
	s_add_i32 s2, s2, s14
	s_and_b32 s14, s17, 0xffff
	s_mul_i32 s2, s2, s8
	s_mov_b32 s17, 0
	s_add_i32 s4, s2, s12
	s_cmp_lt_u32 s12, s8
	v_mad_u64_u32 v[4:5], null, s4, s14, v[2:3]
	s_cselect_b32 s2, 12, 18
	v_bfe_u32 v3, v0, 10, 10
	s_add_u32 s2, s10, s2
	s_addc_u32 s3, s11, 0
	s_mul_i32 s14, s14, s13
	s_mov_b32 s15, exec_lo
	s_delay_alu instid0(VALU_DEP_2)
	v_mad_u64_u32 v[5:6], null, v4, s13, v[3:4]
	v_and_b32_e32 v4, 0x3ff, v0
	global_load_u16 v7, v1, s[2:3]
	s_load_b256 s[0:7], s[0:1], 0x0
	s_waitcnt vmcnt(0)
	v_mad_u64_u32 v[8:9], null, v5, v7, v[4:5]
	v_mov_b32_e32 v5, 0
	v_mov_b32_e32 v6, 0
	s_delay_alu instid0(VALU_DEP_3) | instskip(SKIP_1) | instid1(VALU_DEP_1)
	v_mov_b32_e32 v0, v8
	s_waitcnt lgkmcnt(0)
	v_cmpx_gt_u64_e64 s[2:3], v[0:1]
	s_cbranch_execz .LBB0_4
; %bb.1:
	s_load_b32 s18, s[10:11], 0x8
	s_mul_i32 s19, s14, s8
	v_lshlrev_b64 v[5:6], 2, v[0:1]
	s_mul_i32 s9, s19, s9
	v_mov_b32_e32 v8, v1
	v_dual_mov_b32 v14, v1 :: v_dual_mov_b32 v13, v0
	s_delay_alu instid0(VALU_DEP_3) | instskip(NEXT) | instid1(VALU_DEP_4)
	v_add_co_u32 v9, vcc_lo, s0, v5
	v_add_co_ci_u32_e32 v10, vcc_lo, s1, v6, vcc_lo
	v_mov_b32_e32 v5, 0
	v_mov_b32_e32 v6, 0
	s_waitcnt lgkmcnt(0)
	s_mul_i32 s9, s9, s18
	s_delay_alu instid0(SALU_CYCLE_1) | instskip(NEXT) | instid1(VALU_DEP_1)
	v_mul_lo_u32 v7, s9, v7
	v_lshlrev_b64 v[11:12], 2, v[7:8]
	.p2align	6
.LBB0_2:                                ; =>This Inner Loop Header: Depth=1
	global_load_b32 v8, v[9:10], off
	v_add_co_u32 v13, vcc_lo, v13, v7
	v_add_co_ci_u32_e32 v14, vcc_lo, 0, v14, vcc_lo
	v_add_co_u32 v9, vcc_lo, v9, v11
	v_add_co_ci_u32_e32 v10, vcc_lo, v10, v12, vcc_lo
	s_delay_alu instid0(VALU_DEP_3) | instskip(SKIP_4) | instid1(VALU_DEP_1)
	v_cmp_le_u64_e32 vcc_lo, s[2:3], v[13:14]
	s_or_b32 s17, vcc_lo, s17
	s_waitcnt vmcnt(0)
	v_ashrrev_i32_e32 v15, 31, v8
	v_add_co_u32 v5, s0, v5, v8
	v_add_co_ci_u32_e64 v6, s0, v6, v15, s0
	s_and_not1_b32 exec_lo, exec_lo, s17
	s_cbranch_execnz .LBB0_2
; %bb.3:
	s_or_b32 exec_lo, exec_lo, s17
.LBB0_4:
	s_delay_alu instid0(SALU_CYCLE_1) | instskip(SKIP_3) | instid1(VALU_DEP_1)
	s_or_b32 exec_lo, exec_lo, s15
	v_mad_u32_u24 v9, v2, s13, v3
	s_and_b32 s0, s16, 0xffff
	s_mov_b32 s9, exec_lo
	v_mad_u64_u32 v[7:8], null, v9, s0, v[4:5]
	s_delay_alu instid0(VALU_DEP_1)
	v_lshl_add_u32 v8, v7, 3, 0
	ds_store_b64 v8, v[5:6]
	s_waitcnt lgkmcnt(0)
	s_barrier
	buffer_gl0_inv
	v_cmpx_eq_u32_e32 0, v7
	s_cbranch_execz .LBB0_14
; %bb.5:
	v_mov_b32_e32 v5, 0
	v_mov_b32_e32 v6, 0
	s_mul_i32 s13, s14, s0
	s_delay_alu instid0(SALU_CYCLE_1)
	s_cmp_eq_u32 s13, 0
	s_cbranch_scc1 .LBB0_13
; %bb.6:
	s_mov_b32 s1, 0
	s_cmp_lt_u32 s13, 8
	s_mov_b64 s[2:3], 0
	s_cbranch_scc1 .LBB0_10
; %bb.7:
	v_mov_b32_e32 v5, 0
	v_mov_b32_e32 v6, 0
	s_and_b32 s0, s13, -8
	s_mov_b32 s14, s1
	s_set_inst_prefetch_distance 0x1
	.p2align	6
.LBB0_8:                                ; =>This Inner Loop Header: Depth=1
	v_mov_b32_e32 v19, s14
	s_add_u32 s2, s2, 8
	s_addc_u32 s3, s3, 0
	s_add_i32 s14, s14, 64
	s_cmp_eq_u64 s[0:1], s[2:3]
	ds_load_2addr_b64 v[7:10], v19 offset1:1
	ds_load_2addr_b64 v[11:14], v19 offset0:2 offset1:3
	ds_load_2addr_b64 v[15:18], v19 offset0:4 offset1:5
	s_waitcnt lgkmcnt(2)
	v_add_co_u32 v5, vcc_lo, v7, v5
	v_add_co_ci_u32_e32 v6, vcc_lo, v8, v6, vcc_lo
	s_delay_alu instid0(VALU_DEP_2) | instskip(NEXT) | instid1(VALU_DEP_2)
	v_add_co_u32 v9, vcc_lo, v9, v5
	v_add_co_ci_u32_e32 v10, vcc_lo, v10, v6, vcc_lo
	ds_load_2addr_b64 v[5:8], v19 offset0:6 offset1:7
	s_waitcnt lgkmcnt(2)
	v_add_co_u32 v9, vcc_lo, v11, v9
	v_add_co_ci_u32_e32 v10, vcc_lo, v12, v10, vcc_lo
	s_delay_alu instid0(VALU_DEP_2) | instskip(NEXT) | instid1(VALU_DEP_2)
	v_add_co_u32 v9, vcc_lo, v13, v9
	v_add_co_ci_u32_e32 v10, vcc_lo, v14, v10, vcc_lo
	s_waitcnt lgkmcnt(1)
	s_delay_alu instid0(VALU_DEP_2) | instskip(NEXT) | instid1(VALU_DEP_2)
	v_add_co_u32 v9, vcc_lo, v15, v9
	v_add_co_ci_u32_e32 v10, vcc_lo, v16, v10, vcc_lo
	s_delay_alu instid0(VALU_DEP_2) | instskip(NEXT) | instid1(VALU_DEP_2)
	v_add_co_u32 v9, vcc_lo, v17, v9
	v_add_co_ci_u32_e32 v10, vcc_lo, v18, v10, vcc_lo
	s_waitcnt lgkmcnt(0)
	s_delay_alu instid0(VALU_DEP_2) | instskip(NEXT) | instid1(VALU_DEP_2)
	v_add_co_u32 v5, vcc_lo, v5, v9
	v_add_co_ci_u32_e32 v6, vcc_lo, v6, v10, vcc_lo
	s_delay_alu instid0(VALU_DEP_2) | instskip(NEXT) | instid1(VALU_DEP_2)
	v_add_co_u32 v5, vcc_lo, v7, v5
	v_add_co_ci_u32_e32 v6, vcc_lo, v8, v6, vcc_lo
	s_cbranch_scc0 .LBB0_8
; %bb.9:
	s_set_inst_prefetch_distance 0x2
	s_mov_b64 s[2:3], s[0:1]
.LBB0_10:
	s_and_b32 s0, s13, 7
	s_mov_b32 s1, 0
	s_delay_alu instid0(SALU_CYCLE_1)
	s_cmp_eq_u64 s[0:1], 0
	s_cbranch_scc1 .LBB0_13
; %bb.11:
	s_lshl_b32 s2, s2, 3
	s_delay_alu instid0(SALU_CYCLE_1)
	s_add_i32 s2, s2, 0
.LBB0_12:                               ; =>This Inner Loop Header: Depth=1
	s_delay_alu instid0(SALU_CYCLE_1) | instskip(SKIP_3) | instid1(SALU_CYCLE_1)
	v_mov_b32_e32 v7, s2
	s_add_i32 s2, s2, 8
	s_add_u32 s0, s0, -1
	s_addc_u32 s1, s1, -1
	s_cmp_lg_u64 s[0:1], 0
	ds_load_b64 v[7:8], v7
	s_waitcnt lgkmcnt(0)
	v_add_co_u32 v5, vcc_lo, v7, v5
	v_add_co_ci_u32_e32 v6, vcc_lo, v8, v6, vcc_lo
	s_cbranch_scc1 .LBB0_12
.LBB0_13:
	s_mov_b32 s13, 0
	v_mov_b32_e32 v7, 0
	s_lshl_b64 s[0:1], s[12:13], 3
	s_delay_alu instid0(SALU_CYCLE_1)
	s_add_u32 s0, s4, s0
	s_addc_u32 s1, s5, s1
	global_store_b64 v7, v[5:6], s[0:1]
.LBB0_14:
	s_or_b32 exec_lo, exec_lo, s9
	v_or3_b32 v2, v4, v3, v2
	s_mov_b32 s2, exec_lo
	s_waitcnt_vscnt null, 0x0
	buffer_gl1_inv
	buffer_gl0_inv
	s_barrier
	v_cmpx_eq_u32_e32 0, v2
	s_cbranch_execz .LBB0_24
; %bb.15:
	s_load_b64 s[0:1], s[10:11], 0x58
	v_mov_b32_e32 v4, 0
	s_mov_b32 s3, exec_lo
	s_mov_b32 s9, exec_lo
	v_mbcnt_lo_u32_b32 v3, s3, 0
                                        ; implicit-def: $vgpr5
	s_waitcnt lgkmcnt(0)
	global_load_b32 v2, v4, s[0:1] offset:40
	v_cmpx_eq_u32_e32 0, v3
	s_cbranch_execz .LBB0_17
; %bb.16:
	s_bcnt1_i32_b32 s3, s3
	s_delay_alu instid0(SALU_CYCLE_1)
	v_mov_b32_e32 v5, s3
	global_atomic_add_u32 v5, v4, v5, s[0:1] offset:32 glc
.LBB0_17:
	s_or_b32 exec_lo, exec_lo, s9
	s_waitcnt vmcnt(0)
	v_readfirstlane_b32 s3, v5
	v_add_nc_u32_e32 v5, -1, v2
	s_delay_alu instid0(VALU_DEP_2) | instskip(SKIP_1) | instid1(VALU_DEP_1)
	v_add_nc_u32_e32 v3, s3, v3
	s_mov_b32 s3, exec_lo
	v_and_b32_e32 v4, 0xffff, v3
	s_delay_alu instid0(VALU_DEP_1)
	v_cmpx_ne_u32_e64 v4, v5
	s_xor_b32 s3, exec_lo, s3
	s_cbranch_execz .LBB0_21
; %bb.18:
	v_mov_b32_e32 v2, 0
	s_mov_b32 s9, 0
.LBB0_19:                               ; =>This Inner Loop Header: Depth=1
	s_sleep 1
	global_load_b32 v4, v2, s[0:1] offset:32 glc
	s_waitcnt vmcnt(0)
	v_xor_b32_e32 v4, v4, v3
	s_delay_alu instid0(VALU_DEP_1) | instskip(SKIP_1) | instid1(SALU_CYCLE_1)
	v_cmp_lt_u32_e32 vcc_lo, 0xffff, v4
	s_or_b32 s9, vcc_lo, s9
	s_and_not1_b32 exec_lo, exec_lo, s9
	s_cbranch_execnz .LBB0_19
; %bb.20:
	s_or_b32 exec_lo, exec_lo, s9
                                        ; implicit-def: $vgpr2
.LBB0_21:
	s_and_not1_saveexec_b32 s3, s3
	s_cbranch_execz .LBB0_24
; %bb.22:
	s_mov_b32 s3, exec_lo
	s_delay_alu instid0(SALU_CYCLE_1) | instskip(NEXT) | instid1(VALU_DEP_1)
	v_mbcnt_lo_u32_b32 v3, s3, 0
	v_cmp_eq_u32_e32 vcc_lo, 0, v3
	s_and_b32 s9, exec_lo, vcc_lo
	s_delay_alu instid0(SALU_CYCLE_1)
	s_mov_b32 exec_lo, s9
	s_cbranch_execz .LBB0_24
; %bb.23:
	v_sub_nc_u32_e32 v2, 0x10000, v2
	s_bcnt1_i32_b32 s3, s3
	v_mov_b32_e32 v3, 0
	s_delay_alu instid0(VALU_DEP_2)
	v_mul_lo_u32 v2, v2, s3
	global_atomic_add_u32 v3, v2, s[0:1] offset:32
.LBB0_24:
	s_or_b32 exec_lo, exec_lo, s2
	s_waitcnt_vscnt null, 0x0
	s_barrier
	s_mov_b32 s0, exec_lo
	v_cmpx_gt_u32_e64 s8, v0
	s_cbranch_execz .LBB0_29
; %bb.25:
	v_lshlrev_b64 v[0:1], 3, v[0:1]
	s_mov_b32 s2, exec_lo
	s_mov_b64 s[0:1], 0
	s_delay_alu instid0(VALU_DEP_1) | instskip(NEXT) | instid1(VALU_DEP_2)
	v_add_co_u32 v0, vcc_lo, s4, v0
	v_add_co_ci_u32_e32 v1, vcc_lo, s5, v1, vcc_lo
	global_load_b64 v[0:1], v[0:1], off
.LBB0_26:                               ; =>This Inner Loop Header: Depth=1
	s_ctz_i32_b32 s3, s2
	s_waitcnt vmcnt(0)
	v_readlane_b32 s4, v0, s3
	v_readlane_b32 s5, v1, s3
	s_delay_alu instid0(VALU_DEP_2) | instskip(NEXT) | instid1(VALU_DEP_1)
	s_add_u32 s0, s0, s4
	s_addc_u32 s1, s1, s5
	s_lshl_b32 s3, 1, s3
	s_delay_alu instid0(SALU_CYCLE_1) | instskip(NEXT) | instid1(SALU_CYCLE_1)
	s_and_not1_b32 s2, s2, s3
	s_cmp_lg_u32 s2, 0
	s_cbranch_scc1 .LBB0_26
; %bb.27:
	v_mbcnt_lo_u32_b32 v0, exec_lo, 0
	s_mov_b32 s2, exec_lo
	s_delay_alu instid0(VALU_DEP_1)
	v_cmpx_eq_u32_e32 0, v0
	s_xor_b32 s2, exec_lo, s2
	s_cbranch_execz .LBB0_29
; %bb.28:
	v_mov_b32_e32 v0, s0
	v_dual_mov_b32 v2, 0 :: v_dual_mov_b32 v1, s1
	global_atomic_add_u64 v2, v[0:1], s[6:7]
.LBB0_29:
	s_nop 0
	s_sendmsg sendmsg(MSG_DEALLOC_VGPRS)
	s_endpgm
	.section	.rodata,"a",@progbits
	.p2align	6, 0x0
	.amdhsa_kernel _Z8test_gwsPimPyS0_
		.amdhsa_group_segment_fixed_size 0
		.amdhsa_private_segment_fixed_size 0
		.amdhsa_kernarg_size 288
		.amdhsa_user_sgpr_count 13
		.amdhsa_user_sgpr_dispatch_ptr 0
		.amdhsa_user_sgpr_queue_ptr 0
		.amdhsa_user_sgpr_kernarg_segment_ptr 1
		.amdhsa_user_sgpr_dispatch_id 0
		.amdhsa_user_sgpr_private_segment_size 0
		.amdhsa_wavefront_size32 1
		.amdhsa_uses_dynamic_stack 0
		.amdhsa_enable_private_segment 0
		.amdhsa_system_sgpr_workgroup_id_x 1
		.amdhsa_system_sgpr_workgroup_id_y 1
		.amdhsa_system_sgpr_workgroup_id_z 1
		.amdhsa_system_sgpr_workgroup_info 0
		.amdhsa_system_vgpr_workitem_id 2
		.amdhsa_next_free_vgpr 20
		.amdhsa_next_free_sgpr 20
		.amdhsa_reserve_vcc 1
		.amdhsa_float_round_mode_32 0
		.amdhsa_float_round_mode_16_64 0
		.amdhsa_float_denorm_mode_32 3
		.amdhsa_float_denorm_mode_16_64 3
		.amdhsa_dx10_clamp 1
		.amdhsa_ieee_mode 1
		.amdhsa_fp16_overflow 0
		.amdhsa_workgroup_processor_mode 1
		.amdhsa_memory_ordered 1
		.amdhsa_forward_progress 0
		.amdhsa_shared_vgpr_count 0
		.amdhsa_exception_fp_ieee_invalid_op 0
		.amdhsa_exception_fp_denorm_src 0
		.amdhsa_exception_fp_ieee_div_zero 0
		.amdhsa_exception_fp_ieee_overflow 0
		.amdhsa_exception_fp_ieee_underflow 0
		.amdhsa_exception_fp_ieee_inexact 0
		.amdhsa_exception_int_div_zero 0
	.end_amdhsa_kernel
	.text
.Lfunc_end0:
	.size	_Z8test_gwsPimPyS0_, .Lfunc_end0-_Z8test_gwsPimPyS0_
                                        ; -- End function
	.section	.AMDGPU.csdata,"",@progbits
; Kernel info:
; codeLenInByte = 1316
; NumSgprs: 22
; NumVgprs: 20
; ScratchSize: 0
; MemoryBound: 0
; FloatMode: 240
; IeeeMode: 1
; LDSByteSize: 0 bytes/workgroup (compile time only)
; SGPRBlocks: 2
; VGPRBlocks: 2
; NumSGPRsForWavesPerEU: 22
; NumVGPRsForWavesPerEU: 20
; Occupancy: 16
; WaveLimiterHint : 0
; COMPUTE_PGM_RSRC2:SCRATCH_EN: 0
; COMPUTE_PGM_RSRC2:USER_SGPR: 13
; COMPUTE_PGM_RSRC2:TRAP_HANDLER: 0
; COMPUTE_PGM_RSRC2:TGID_X_EN: 1
; COMPUTE_PGM_RSRC2:TGID_Y_EN: 1
; COMPUTE_PGM_RSRC2:TGID_Z_EN: 1
; COMPUTE_PGM_RSRC2:TIDIG_COMP_CNT: 2
	.text
	.p2alignl 7, 3214868480
	.fill 96, 4, 3214868480
	.type	__hip_cuid_5a89ff71b9656d7,@object ; @__hip_cuid_5a89ff71b9656d7
	.section	.bss,"aw",@nobits
	.globl	__hip_cuid_5a89ff71b9656d7
__hip_cuid_5a89ff71b9656d7:
	.byte	0                               ; 0x0
	.size	__hip_cuid_5a89ff71b9656d7, 1

	.ident	"AMD clang version 19.0.0git (https://github.com/RadeonOpenCompute/llvm-project roc-6.4.0 25133 c7fe45cf4b819c5991fe208aaa96edf142730f1d)"
	.section	".note.GNU-stack","",@progbits
	.addrsig
	.addrsig_sym __hip_cuid_5a89ff71b9656d7
	.amdgpu_metadata
---
amdhsa.kernels:
  - .args:
      - .address_space:  global
        .offset:         0
        .size:           8
        .value_kind:     global_buffer
      - .offset:         8
        .size:           8
        .value_kind:     by_value
      - .address_space:  global
        .offset:         16
        .size:           8
        .value_kind:     global_buffer
      - .address_space:  global
        .offset:         24
        .size:           8
        .value_kind:     global_buffer
      - .offset:         32
        .size:           4
        .value_kind:     hidden_block_count_x
      - .offset:         36
        .size:           4
        .value_kind:     hidden_block_count_y
      - .offset:         40
        .size:           4
        .value_kind:     hidden_block_count_z
      - .offset:         44
        .size:           2
        .value_kind:     hidden_group_size_x
      - .offset:         46
        .size:           2
        .value_kind:     hidden_group_size_y
      - .offset:         48
        .size:           2
        .value_kind:     hidden_group_size_z
      - .offset:         50
        .size:           2
        .value_kind:     hidden_remainder_x
      - .offset:         52
        .size:           2
        .value_kind:     hidden_remainder_y
      - .offset:         54
        .size:           2
        .value_kind:     hidden_remainder_z
      - .offset:         72
        .size:           8
        .value_kind:     hidden_global_offset_x
      - .offset:         80
        .size:           8
        .value_kind:     hidden_global_offset_y
      - .offset:         88
        .size:           8
        .value_kind:     hidden_global_offset_z
      - .offset:         96
        .size:           2
        .value_kind:     hidden_grid_dims
      - .offset:         120
        .size:           8
        .value_kind:     hidden_multigrid_sync_arg
      - .offset:         152
        .size:           4
        .value_kind:     hidden_dynamic_lds_size
    .group_segment_fixed_size: 0
    .kernarg_segment_align: 8
    .kernarg_segment_size: 288
    .language:       OpenCL C
    .language_version:
      - 2
      - 0
    .max_flat_workgroup_size: 1024
    .name:           _Z8test_gwsPimPyS0_
    .private_segment_fixed_size: 0
    .sgpr_count:     22
    .sgpr_spill_count: 0
    .symbol:         _Z8test_gwsPimPyS0_.kd
    .uniform_work_group_size: 1
    .uses_dynamic_stack: false
    .vgpr_count:     20
    .vgpr_spill_count: 0
    .wavefront_size: 32
    .workgroup_processor_mode: 1
amdhsa.target:   amdgcn-amd-amdhsa--gfx1100
amdhsa.version:
  - 1
  - 2
...

	.end_amdgpu_metadata
